;; amdgpu-corpus repo=zjin-lcf/HeCBench kind=compiled arch=gfx1100 opt=O3
	.text
	.amdgcn_target "amdgcn-amd-amdhsa--gfx1100"
	.amdhsa_code_object_version 6
	.protected	_Z3mhaPKfS0_S0_iiiiifiPf ; -- Begin function _Z3mhaPKfS0_S0_iiiiifiPf
	.globl	_Z3mhaPKfS0_S0_iiiiifiPf
	.p2align	8
	.type	_Z3mhaPKfS0_S0_iiiiifiPf,@function
_Z3mhaPKfS0_S0_iiiiifiPf:               ; @_Z3mhaPKfS0_S0_iiiiifiPf
; %bb.0:
	s_clause 0x1
	s_load_b128 s[8:11], s[0:1], 0x1c
	s_load_b64 s[4:5], s[0:1], 0x2c
	s_waitcnt lgkmcnt(0)
	s_abs_i32 s2, s11
	v_cvt_f32_u32_e32 v2, s11
	v_cvt_f32_u32_e32 v1, s2
	s_sub_i32 s6, 0, s2
	s_abs_i32 s7, s9
	s_delay_alu instid0(VALU_DEP_2) | instskip(NEXT) | instid1(VALU_DEP_1)
	v_rcp_iflag_f32_e32 v2, v2
	v_rcp_iflag_f32_e32 v1, v1
	s_waitcnt_depctr 0xfff
	v_mul_f32_e32 v1, 0x4f7ffffe, v1
	s_delay_alu instid0(VALU_DEP_1) | instskip(NEXT) | instid1(VALU_DEP_1)
	v_cvt_u32_f32_e32 v1, v1
	v_readfirstlane_b32 s3, v1
	v_mul_f32_e32 v1, 0x4f7ffffe, v2
	s_delay_alu instid0(VALU_DEP_2) | instskip(NEXT) | instid1(VALU_DEP_1)
	s_mul_i32 s6, s6, s3
	v_cvt_u32_f32_e32 v1, v1
	s_mul_hi_u32 s6, s3, s6
	s_delay_alu instid0(SALU_CYCLE_1)
	s_add_i32 s3, s3, s6
	s_xor_b32 s6, s9, s11
	s_mul_hi_u32 s3, s7, s3
	s_ashr_i32 s6, s6, 31
	s_mul_i32 s12, s3, s2
	v_readfirstlane_b32 s14, v1
	s_sub_i32 s7, s7, s12
	s_add_i32 s12, s3, 1
	s_sub_i32 s13, s7, s2
	s_cmp_ge_u32 s7, s2
	s_cselect_b32 s3, s12, s3
	s_cselect_b32 s7, s13, s7
	s_add_i32 s12, s3, 1
	s_cmp_ge_u32 s7, s2
	s_cselect_b32 s2, s12, s3
	s_sub_i32 s3, 0, s11
	s_xor_b32 s2, s2, s6
	s_mul_i32 s3, s3, s14
	s_sub_i32 s23, s2, s6
	s_mul_hi_u32 s3, s14, s3
	s_delay_alu instid0(SALU_CYCLE_1) | instskip(NEXT) | instid1(SALU_CYCLE_1)
	s_add_i32 s14, s14, s3
	s_mul_hi_u32 s3, s15, s14
	s_delay_alu instid0(SALU_CYCLE_1) | instskip(SKIP_2) | instid1(SALU_CYCLE_1)
	s_mul_i32 s7, s3, s11
	s_add_i32 s6, s3, 1
	s_sub_i32 s2, s15, s7
	s_sub_i32 s7, s2, s11
	s_cmp_ge_u32 s2, s11
	s_cselect_b32 s3, s6, s3
	s_cselect_b32 s2, s7, s2
	s_add_i32 s6, s3, 1
	s_cmp_ge_u32 s2, s11
	v_cmp_gt_u32_e64 s2, s23, v0
	s_cselect_b32 s22, s6, s3
	s_delay_alu instid0(SALU_CYCLE_1) | instskip(SKIP_2) | instid1(SALU_CYCLE_1)
	s_mul_i32 s3, s22, s11
	s_mul_i32 s7, s22, s9
	s_sub_i32 s3, s15, s3
	s_mul_i32 s6, s3, s23
	s_and_saveexec_b32 s3, s2
	s_cbranch_execz .LBB0_2
; %bb.1:
	s_load_b64 s[12:13], s[0:1], 0x0
	v_add3_u32 v1, s7, s6, v0
	s_delay_alu instid0(VALU_DEP_1) | instskip(NEXT) | instid1(VALU_DEP_1)
	v_ashrrev_i32_e32 v2, 31, v1
	v_lshlrev_b64 v[1:2], 2, v[1:2]
	s_waitcnt lgkmcnt(0)
	s_delay_alu instid0(VALU_DEP_1) | instskip(NEXT) | instid1(VALU_DEP_2)
	v_add_co_u32 v1, vcc_lo, s12, v1
	v_add_co_ci_u32_e32 v2, vcc_lo, s13, v2, vcc_lo
	global_load_b32 v1, v[1:2], off
	v_lshl_add_u32 v2, v0, 2, 40
	s_waitcnt vmcnt(0)
	ds_store_b32 v2, v1
.LBB0_2:
	s_or_b32 exec_lo, exec_lo, s3
	s_clause 0x1
	s_load_b64 s[14:15], s[0:1], 0x10
	s_load_b64 s[12:13], s[0:1], 0x38
	v_cmp_gt_u32_e32 vcc_lo, s8, v0
	v_mov_b32_e32 v3, 0x9e3ce508
	s_waitcnt lgkmcnt(0)
	s_barrier
	buffer_gl0_inv
	s_and_saveexec_b32 s3, vcc_lo
	s_cbranch_execz .LBB0_13
; %bb.3:
	s_cmp_lt_i32 s23, 1
	s_cbranch_scc1 .LBB0_8
; %bb.4:
	s_load_b64 s[16:17], s[0:1], 0x8
	v_mul_lo_u32 v1, v0, s9
	v_mov_b32_e32 v2, 0
	s_mul_i32 s18, s7, s8
	s_ashr_i32 s7, s6, 31
	s_ashr_i32 s19, s18, 31
	s_cmp_lt_u32 s23, 8
	s_delay_alu instid0(VALU_DEP_2)
	v_lshlrev_b64 v[3:4], 2, v[1:2]
	s_cbranch_scc1 .LBB0_9
; %bb.5:
	s_lshl_b64 s[0:1], s[18:19], 2
	s_lshl_b64 s[24:25], s[6:7], 2
	s_and_b32 s20, s23, 0x7ffffff8
	s_add_u32 s0, s0, s24
	s_addc_u32 s1, s1, s25
	s_waitcnt lgkmcnt(0)
	s_add_u32 s0, s16, s0
	s_addc_u32 s1, s17, s1
	v_add_co_u32 v1, s0, s0, v3
	s_delay_alu instid0(VALU_DEP_1) | instskip(SKIP_1) | instid1(VALU_DEP_2)
	v_add_co_ci_u32_e64 v2, s0, s1, v4, s0
	s_mov_b32 s1, 0
	v_add_co_u32 v5, s0, v1, 28
	s_delay_alu instid0(VALU_DEP_1)
	v_add_co_ci_u32_e64 v6, s0, 0, v2, s0
	v_mov_b32_e32 v2, 0
	s_mov_b32 s9, 40
	.p2align	6
.LBB0_6:                                ; =>This Inner Loop Header: Depth=1
	s_clause 0x1
	global_load_b128 v[7:10], v[5:6], off offset:-28
	global_load_b128 v[11:14], v[5:6], off offset:-12
	v_mov_b32_e32 v1, s9
	v_add_co_u32 v5, s0, v5, 32
	s_delay_alu instid0(VALU_DEP_1)
	v_add_co_ci_u32_e64 v6, s0, 0, v6, s0
	ds_load_2addr_b32 v[15:16], v1 offset1:1
	ds_load_2addr_b32 v[17:18], v1 offset0:2 offset1:3
	ds_load_2addr_b32 v[19:20], v1 offset0:4 offset1:5
	;; [unrolled: 1-line block ×3, first 2 shown]
	s_add_i32 s1, s1, 8
	s_add_i32 s9, s9, 32
	s_cmp_eq_u32 s20, s1
	s_waitcnt vmcnt(1) lgkmcnt(3)
	v_fmac_f32_e32 v2, v15, v7
	s_delay_alu instid0(VALU_DEP_1) | instskip(SKIP_1) | instid1(VALU_DEP_1)
	v_fmac_f32_e32 v2, v16, v8
	s_waitcnt lgkmcnt(2)
	v_fmac_f32_e32 v2, v17, v9
	s_delay_alu instid0(VALU_DEP_1) | instskip(SKIP_1) | instid1(VALU_DEP_1)
	v_fmac_f32_e32 v2, v18, v10
	s_waitcnt vmcnt(0) lgkmcnt(1)
	v_fmac_f32_e32 v2, v19, v11
	s_delay_alu instid0(VALU_DEP_1) | instskip(SKIP_1) | instid1(VALU_DEP_1)
	v_fmac_f32_e32 v2, v20, v12
	s_waitcnt lgkmcnt(0)
	v_fmac_f32_e32 v2, v21, v13
	s_delay_alu instid0(VALU_DEP_1)
	v_fmac_f32_e32 v2, v22, v14
	s_cbranch_scc0 .LBB0_6
; %bb.7:
	s_and_b32 s1, s23, 7
	s_mov_b32 s21, 0
	s_cmp_eq_u32 s1, 0
	s_cbranch_scc0 .LBB0_10
	s_branch .LBB0_12
.LBB0_8:
	v_mov_b32_e32 v2, 0
	s_branch .LBB0_12
.LBB0_9:
	s_mov_b32 s20, 0
	s_and_b32 s1, s23, 7
	s_mov_b32 s21, 0
	s_cmp_eq_u32 s1, 0
	s_cbranch_scc1 .LBB0_12
.LBB0_10:
	s_lshl_b32 s0, s20, 2
	s_lshl_b64 s[18:19], s[18:19], 2
	s_lshl_b64 s[24:25], s[6:7], 2
	s_add_i32 s7, s0, 40
	s_add_u32 s0, s18, s24
	s_addc_u32 s9, s19, s25
	s_lshl_b64 s[18:19], s[20:21], 2
	s_delay_alu instid0(SALU_CYCLE_1)
	s_add_u32 s0, s0, s18
	s_addc_u32 s9, s9, s19
	s_waitcnt lgkmcnt(0)
	s_add_u32 s0, s16, s0
	s_addc_u32 s9, s17, s9
	v_add_co_u32 v3, s0, s0, v3
	s_delay_alu instid0(VALU_DEP_1)
	v_add_co_ci_u32_e64 v4, s0, s9, v4, s0
.LBB0_11:                               ; =>This Inner Loop Header: Depth=1
	global_load_b32 v1, v[3:4], off
	v_mov_b32_e32 v5, s7
	v_add_co_u32 v3, s0, v3, 4
	s_delay_alu instid0(VALU_DEP_1)
	v_add_co_ci_u32_e64 v4, s0, 0, v4, s0
	ds_load_b32 v5, v5
	s_add_i32 s1, s1, -1
	s_add_i32 s7, s7, 4
	s_cmp_lg_u32 s1, 0
	s_waitcnt vmcnt(0) lgkmcnt(0)
	v_fmac_f32_e32 v2, v5, v1
	s_cbranch_scc1 .LBB0_11
.LBB0_12:
	s_delay_alu instid0(VALU_DEP_1)
	v_mul_f32_e32 v3, s4, v2
.LBB0_13:
	s_or_b32 exec_lo, exec_lo, s3
	s_delay_alu instid0(VALU_DEP_1) | instskip(SKIP_1) | instid1(VALU_DEP_2)
	v_mov_b32_dpp v1, v3 quad_perm:[1,0,3,2] row_mask:0xf bank_mask:0xf
	v_lshrrev_b32_e32 v4, 3, v0
	v_cmp_gt_f32_e64 s0, v3, v1
	s_delay_alu instid0(VALU_DEP_1) | instskip(NEXT) | instid1(VALU_DEP_1)
	v_cndmask_b32_e64 v1, v1, v3, s0
	v_mov_b32_dpp v2, v1 quad_perm:[2,3,0,1] row_mask:0xf bank_mask:0xf
	s_delay_alu instid0(VALU_DEP_1) | instskip(NEXT) | instid1(VALU_DEP_1)
	v_cmp_gt_f32_e64 s0, v1, v2
	v_cndmask_b32_e64 v1, v2, v1, s0
	s_delay_alu instid0(VALU_DEP_1) | instskip(NEXT) | instid1(VALU_DEP_1)
	v_mov_b32_dpp v2, v1 row_ror:4 row_mask:0xf bank_mask:0xf
	v_cmp_gt_f32_e64 s0, v1, v2
	s_delay_alu instid0(VALU_DEP_1) | instskip(NEXT) | instid1(VALU_DEP_1)
	v_cndmask_b32_e64 v1, v2, v1, s0
	v_mov_b32_dpp v2, v1 row_ror:8 row_mask:0xf bank_mask:0xf
	s_delay_alu instid0(VALU_DEP_1) | instskip(NEXT) | instid1(VALU_DEP_1)
	v_cmp_gt_f32_e64 s0, v1, v2
	v_cndmask_b32_e64 v1, v2, v1, s0
	ds_swizzle_b32 v2, v1 offset:swizzle(BROADCAST,32,15)
	s_waitcnt lgkmcnt(0)
	v_cmp_gt_f32_e64 s0, v1, v2
	s_delay_alu instid0(VALU_DEP_1) | instskip(SKIP_3) | instid1(VALU_DEP_1)
	v_cndmask_b32_e64 v1, v2, v1, s0
	v_mov_b32_e32 v2, 0
	ds_bpermute_b32 v6, v2, v1 offset:124
	v_mbcnt_lo_u32_b32 v1, -1, 0
	v_cmp_eq_u32_e64 s0, 0, v1
	s_delay_alu instid0(VALU_DEP_1)
	s_and_saveexec_b32 s1, s0
	s_cbranch_execz .LBB0_15
; %bb.14:
	v_and_b32_e32 v2, 0x7c, v4
	s_waitcnt lgkmcnt(0)
	ds_store_b32 v2, v6
.LBB0_15:
	s_or_b32 exec_lo, exec_lo, s1
	v_cmp_gt_u32_e64 s1, 32, v0
	v_and_b32_e32 v2, 7, v1
	s_waitcnt lgkmcnt(0)
	s_barrier
	buffer_gl0_inv
	s_and_saveexec_b32 s4, s1
	s_cbranch_execz .LBB0_17
; %bb.16:
	v_lshlrev_b32_e32 v5, 2, v2
	v_cmp_ne_u32_e64 s3, 7, v2
	ds_load_b32 v5, v5
	v_add_co_ci_u32_e64 v6, s3, 0, v1, s3
	v_cmp_gt_u32_e64 s3, 6, v2
	s_delay_alu instid0(VALU_DEP_2) | instskip(NEXT) | instid1(VALU_DEP_2)
	v_lshlrev_b32_e32 v6, 2, v6
	v_cndmask_b32_e64 v7, 0, 1, s3
	s_delay_alu instid0(VALU_DEP_1) | instskip(NEXT) | instid1(VALU_DEP_1)
	v_lshlrev_b32_e32 v7, 1, v7
	v_add_lshl_u32 v7, v7, v1, 2
	s_waitcnt lgkmcnt(0)
	ds_bpermute_b32 v6, v6, v5
	s_waitcnt lgkmcnt(0)
	v_cmp_lt_f32_e64 s3, v5, v6
	s_delay_alu instid0(VALU_DEP_1) | instskip(SKIP_3) | instid1(VALU_DEP_1)
	v_cndmask_b32_e64 v5, v5, v6, s3
	v_cmp_gt_u32_e64 s3, 4, v2
	ds_bpermute_b32 v6, v7, v5
	v_cndmask_b32_e64 v7, 0, 1, s3
	v_lshlrev_b32_e32 v7, 2, v7
	s_delay_alu instid0(VALU_DEP_1) | instskip(SKIP_2) | instid1(VALU_DEP_1)
	v_add_lshl_u32 v7, v7, v1, 2
	s_waitcnt lgkmcnt(0)
	v_cmp_lt_f32_e64 s3, v5, v6
	v_cndmask_b32_e64 v5, v5, v6, s3
	ds_bpermute_b32 v6, v7, v5
	s_waitcnt lgkmcnt(0)
	v_cmp_lt_f32_e64 s3, v5, v6
	s_delay_alu instid0(VALU_DEP_1)
	v_cndmask_b32_e64 v6, v5, v6, s3
.LBB0_17:
	s_or_b32 exec_lo, exec_lo, s4
	v_mov_b32_e32 v5, 0x7c
	v_cmp_eq_u32_e64 s3, 0, v0
	s_delay_alu instid0(VALU_DEP_1)
	s_and_saveexec_b32 s4, s3
	s_cbranch_execz .LBB0_19
; %bb.18:
	v_mov_b32_e32 v7, 0
	ds_store_b32 v7, v6 offset:36
.LBB0_19:
	s_or_b32 exec_lo, exec_lo, s4
	v_mov_b32_e32 v6, 0
	s_waitcnt lgkmcnt(0)
	s_barrier
	buffer_gl0_inv
	s_sub_i32 s4, 0, s5
	ds_load_b32 v6, v6 offset:36
	v_cvt_f32_i32_e32 v7, s4
	s_waitcnt lgkmcnt(0)
	v_sub_f32_e32 v3, v3, v6
	s_delay_alu instid0(VALU_DEP_1) | instskip(NEXT) | instid1(VALU_DEP_1)
	v_cmp_lt_f32_e64 s4, v3, v7
	v_cndmask_b32_e64 v3, v3, v7, s4
	s_delay_alu instid0(VALU_DEP_1) | instskip(SKIP_1) | instid1(VALU_DEP_2)
	v_mul_f32_e32 v6, 0x3fb8aa3b, v3
	v_cmp_ngt_f32_e64 s4, 0xc2ce8ed0, v3
	v_fma_f32 v7, 0x3fb8aa3b, v3, -v6
	v_rndne_f32_e32 v8, v6
	s_delay_alu instid0(VALU_DEP_1) | instskip(NEXT) | instid1(VALU_DEP_1)
	v_dual_fmamk_f32 v7, v3, 0x32a5705f, v7 :: v_dual_sub_f32 v6, v6, v8
	v_add_f32_e32 v6, v6, v7
	v_cvt_i32_f32_e32 v7, v8
	s_delay_alu instid0(VALU_DEP_2) | instskip(SKIP_2) | instid1(VALU_DEP_1)
	v_exp_f32_e32 v6, v6
	s_waitcnt_depctr 0xfff
	v_ldexp_f32 v6, v6, v7
	v_cndmask_b32_e64 v6, 0, v6, s4
	v_cmp_nlt_f32_e64 s4, 0x42b17218, v3
	s_delay_alu instid0(VALU_DEP_1) | instskip(NEXT) | instid1(VALU_DEP_1)
	v_cndmask_b32_e64 v3, 0x7f800000, v6, s4
	v_cndmask_b32_e32 v6, 0, v3, vcc_lo
	s_delay_alu instid0(VALU_DEP_1) | instskip(NEXT) | instid1(VALU_DEP_1)
	v_mov_b32_dpp v7, v6 quad_perm:[1,0,3,2] row_mask:0xf bank_mask:0xf
	v_add_f32_e32 v6, v6, v7
	s_delay_alu instid0(VALU_DEP_1) | instskip(NEXT) | instid1(VALU_DEP_1)
	v_mov_b32_dpp v7, v6 quad_perm:[2,3,0,1] row_mask:0xf bank_mask:0xf
	v_add_f32_e32 v6, v6, v7
	s_delay_alu instid0(VALU_DEP_1) | instskip(NEXT) | instid1(VALU_DEP_1)
	v_mov_b32_dpp v7, v6 row_ror:4 row_mask:0xf bank_mask:0xf
	v_add_f32_e32 v6, v6, v7
	s_delay_alu instid0(VALU_DEP_1) | instskip(NEXT) | instid1(VALU_DEP_1)
	v_mov_b32_dpp v7, v6 row_ror:8 row_mask:0xf bank_mask:0xf
	v_add_f32_e32 v6, v6, v7
	ds_swizzle_b32 v7, v6 offset:swizzle(BROADCAST,32,15)
	s_waitcnt lgkmcnt(0)
	v_add_f32_e32 v6, v6, v7
	ds_bpermute_b32 v5, v5, v6
	s_and_saveexec_b32 s4, s0
	s_cbranch_execz .LBB0_21
; %bb.20:
	v_and_b32_e32 v4, 0x7c, v4
	s_waitcnt lgkmcnt(0)
	ds_store_b32 v4, v5
.LBB0_21:
	s_or_b32 exec_lo, exec_lo, s4
	s_waitcnt lgkmcnt(0)
	s_barrier
	buffer_gl0_inv
	s_and_saveexec_b32 s4, s1
	s_cbranch_execz .LBB0_23
; %bb.22:
	v_lshlrev_b32_e32 v4, 2, v2
	v_cmp_ne_u32_e64 s0, 7, v2
	ds_load_b32 v4, v4
	v_add_co_ci_u32_e64 v5, s0, 0, v1, s0
	v_cmp_gt_u32_e64 s0, 6, v2
	s_delay_alu instid0(VALU_DEP_2) | instskip(NEXT) | instid1(VALU_DEP_2)
	v_lshlrev_b32_e32 v5, 2, v5
	v_cndmask_b32_e64 v6, 0, 1, s0
	v_cmp_gt_u32_e64 s0, 4, v2
	s_delay_alu instid0(VALU_DEP_2) | instskip(NEXT) | instid1(VALU_DEP_2)
	v_lshlrev_b32_e32 v6, 1, v6
	v_cndmask_b32_e64 v2, 0, 1, s0
	s_delay_alu instid0(VALU_DEP_2) | instskip(NEXT) | instid1(VALU_DEP_2)
	v_add_lshl_u32 v6, v6, v1, 2
	v_lshlrev_b32_e32 v2, 2, v2
	s_waitcnt lgkmcnt(0)
	ds_bpermute_b32 v5, v5, v4
	v_add_lshl_u32 v1, v2, v1, 2
	s_waitcnt lgkmcnt(0)
	v_add_f32_e32 v4, v4, v5
	ds_bpermute_b32 v5, v6, v4
	s_waitcnt lgkmcnt(0)
	v_add_f32_e32 v4, v4, v5
	ds_bpermute_b32 v1, v1, v4
	s_waitcnt lgkmcnt(0)
	v_add_f32_e32 v5, v4, v1
.LBB0_23:
	s_or_b32 exec_lo, exec_lo, s4
	s_and_saveexec_b32 s0, s3
	s_cbranch_execz .LBB0_25
; %bb.24:
	v_mov_b32_e32 v1, 0
	ds_store_b32 v1, v5 offset:32
.LBB0_25:
	s_or_b32 exec_lo, exec_lo, s0
	s_lshl_b32 s0, s23, 2
	s_waitcnt lgkmcnt(0)
	s_add_i32 s0, s0, 40
	s_barrier
	buffer_gl0_inv
	s_and_saveexec_b32 s1, vcc_lo
	s_cbranch_execz .LBB0_27
; %bb.26:
	v_mov_b32_e32 v1, 0
	ds_load_b32 v1, v1 offset:32
	s_waitcnt lgkmcnt(0)
	v_div_scale_f32 v2, null, v1, v1, v3
	s_delay_alu instid0(VALU_DEP_1) | instskip(SKIP_2) | instid1(VALU_DEP_1)
	v_rcp_f32_e32 v4, v2
	s_waitcnt_depctr 0xfff
	v_fma_f32 v5, -v2, v4, 1.0
	v_fmac_f32_e32 v4, v5, v4
	v_div_scale_f32 v5, vcc_lo, v3, v1, v3
	s_delay_alu instid0(VALU_DEP_1) | instskip(NEXT) | instid1(VALU_DEP_1)
	v_mul_f32_e32 v6, v5, v4
	v_fma_f32 v7, -v2, v6, v5
	s_delay_alu instid0(VALU_DEP_1) | instskip(NEXT) | instid1(VALU_DEP_1)
	v_fmac_f32_e32 v6, v7, v4
	v_fma_f32 v2, -v2, v6, v5
	s_delay_alu instid0(VALU_DEP_1) | instskip(SKIP_1) | instid1(VALU_DEP_2)
	v_div_fmas_f32 v2, v2, v4, v6
	v_lshl_add_u32 v4, v0, 2, s0
	v_div_fixup_f32 v1, v2, v1, v3
	ds_store_b32 v4, v1
.LBB0_27:
	s_or_b32 exec_lo, exec_lo, s1
	s_waitcnt lgkmcnt(0)
	s_barrier
	buffer_gl0_inv
	s_and_saveexec_b32 s1, s2
	s_cbranch_execz .LBB0_33
; %bb.28:
	s_cmp_lt_i32 s8, 1
	s_mul_i32 s1, s22, s10
	s_cbranch_scc1 .LBB0_31
; %bb.29:
	s_mul_i32 s2, s1, s8
	v_mov_b32_e32 v3, 0
	v_add3_u32 v1, s2, s6, v0
	.p2align	6
.LBB0_30:                               ; =>This Inner Loop Header: Depth=1
	s_delay_alu instid0(VALU_DEP_1) | instskip(SKIP_1) | instid1(VALU_DEP_1)
	v_ashrrev_i32_e32 v2, 31, v1
	s_add_i32 s8, s8, -1
	v_lshlrev_b64 v[4:5], 2, v[1:2]
	v_add_nc_u32_e32 v1, s10, v1
	s_delay_alu instid0(VALU_DEP_2) | instskip(NEXT) | instid1(VALU_DEP_3)
	v_add_co_u32 v4, vcc_lo, s14, v4
	v_add_co_ci_u32_e32 v5, vcc_lo, s15, v5, vcc_lo
	global_load_b32 v2, v[4:5], off
	v_mov_b32_e32 v4, s0
	s_add_i32 s0, s0, 4
	s_cmp_eq_u32 s8, 0
	ds_load_b32 v4, v4
	s_waitcnt vmcnt(0) lgkmcnt(0)
	v_fmac_f32_e32 v3, v4, v2
	s_cbranch_scc0 .LBB0_30
	s_branch .LBB0_32
.LBB0_31:
	v_mov_b32_e32 v3, 0
.LBB0_32:
	v_add3_u32 v0, s6, s1, v0
	v_mov_b32_e32 v1, 0
	s_delay_alu instid0(VALU_DEP_1) | instskip(NEXT) | instid1(VALU_DEP_1)
	v_lshlrev_b64 v[0:1], 2, v[0:1]
	v_add_co_u32 v0, vcc_lo, s12, v0
	s_delay_alu instid0(VALU_DEP_2)
	v_add_co_ci_u32_e32 v1, vcc_lo, s13, v1, vcc_lo
	global_store_b32 v[0:1], v3, off
.LBB0_33:
	s_nop 0
	s_sendmsg sendmsg(MSG_DEALLOC_VGPRS)
	s_endpgm
	.section	.rodata,"a",@progbits
	.p2align	6, 0x0
	.amdhsa_kernel _Z3mhaPKfS0_S0_iiiiifiPf
		.amdhsa_group_segment_fixed_size 40
		.amdhsa_private_segment_fixed_size 0
		.amdhsa_kernarg_size 64
		.amdhsa_user_sgpr_count 15
		.amdhsa_user_sgpr_dispatch_ptr 0
		.amdhsa_user_sgpr_queue_ptr 0
		.amdhsa_user_sgpr_kernarg_segment_ptr 1
		.amdhsa_user_sgpr_dispatch_id 0
		.amdhsa_user_sgpr_private_segment_size 0
		.amdhsa_wavefront_size32 1
		.amdhsa_uses_dynamic_stack 0
		.amdhsa_enable_private_segment 0
		.amdhsa_system_sgpr_workgroup_id_x 1
		.amdhsa_system_sgpr_workgroup_id_y 0
		.amdhsa_system_sgpr_workgroup_id_z 0
		.amdhsa_system_sgpr_workgroup_info 0
		.amdhsa_system_vgpr_workitem_id 0
		.amdhsa_next_free_vgpr 23
		.amdhsa_next_free_sgpr 26
		.amdhsa_reserve_vcc 1
		.amdhsa_float_round_mode_32 0
		.amdhsa_float_round_mode_16_64 0
		.amdhsa_float_denorm_mode_32 3
		.amdhsa_float_denorm_mode_16_64 3
		.amdhsa_dx10_clamp 1
		.amdhsa_ieee_mode 1
		.amdhsa_fp16_overflow 0
		.amdhsa_workgroup_processor_mode 1
		.amdhsa_memory_ordered 1
		.amdhsa_forward_progress 0
		.amdhsa_shared_vgpr_count 0
		.amdhsa_exception_fp_ieee_invalid_op 0
		.amdhsa_exception_fp_denorm_src 0
		.amdhsa_exception_fp_ieee_div_zero 0
		.amdhsa_exception_fp_ieee_overflow 0
		.amdhsa_exception_fp_ieee_underflow 0
		.amdhsa_exception_fp_ieee_inexact 0
		.amdhsa_exception_int_div_zero 0
	.end_amdhsa_kernel
	.text
.Lfunc_end0:
	.size	_Z3mhaPKfS0_S0_iiiiifiPf, .Lfunc_end0-_Z3mhaPKfS0_S0_iiiiifiPf
                                        ; -- End function
	.section	.AMDGPU.csdata,"",@progbits
; Kernel info:
; codeLenInByte = 2292
; NumSgprs: 28
; NumVgprs: 23
; ScratchSize: 0
; MemoryBound: 0
; FloatMode: 240
; IeeeMode: 1
; LDSByteSize: 40 bytes/workgroup (compile time only)
; SGPRBlocks: 3
; VGPRBlocks: 2
; NumSGPRsForWavesPerEU: 28
; NumVGPRsForWavesPerEU: 23
; Occupancy: 16
; WaveLimiterHint : 0
; COMPUTE_PGM_RSRC2:SCRATCH_EN: 0
; COMPUTE_PGM_RSRC2:USER_SGPR: 15
; COMPUTE_PGM_RSRC2:TRAP_HANDLER: 0
; COMPUTE_PGM_RSRC2:TGID_X_EN: 1
; COMPUTE_PGM_RSRC2:TGID_Y_EN: 0
; COMPUTE_PGM_RSRC2:TGID_Z_EN: 0
; COMPUTE_PGM_RSRC2:TIDIG_COMP_CNT: 0
	.text
	.p2alignl 7, 3214868480
	.fill 96, 4, 3214868480
	.type	__hip_cuid_c141ab33616d9e80,@object ; @__hip_cuid_c141ab33616d9e80
	.section	.bss,"aw",@nobits
	.globl	__hip_cuid_c141ab33616d9e80
__hip_cuid_c141ab33616d9e80:
	.byte	0                               ; 0x0
	.size	__hip_cuid_c141ab33616d9e80, 1

	.ident	"AMD clang version 19.0.0git (https://github.com/RadeonOpenCompute/llvm-project roc-6.4.0 25133 c7fe45cf4b819c5991fe208aaa96edf142730f1d)"
	.section	".note.GNU-stack","",@progbits
	.addrsig
	.addrsig_sym __hip_cuid_c141ab33616d9e80
	.amdgpu_metadata
---
amdhsa.kernels:
  - .args:
      - .actual_access:  read_only
        .address_space:  global
        .offset:         0
        .size:           8
        .value_kind:     global_buffer
      - .actual_access:  read_only
        .address_space:  global
        .offset:         8
        .size:           8
        .value_kind:     global_buffer
      - .actual_access:  read_only
        .address_space:  global
        .offset:         16
        .size:           8
        .value_kind:     global_buffer
      - .offset:         24
        .size:           4
        .value_kind:     by_value
      - .offset:         28
        .size:           4
        .value_kind:     by_value
      - .offset:         32
        .size:           4
        .value_kind:     by_value
      - .offset:         36
        .size:           4
        .value_kind:     by_value
      - .offset:         40
        .size:           4
        .value_kind:     by_value
      - .offset:         44
        .size:           4
        .value_kind:     by_value
      - .offset:         48
        .size:           4
        .value_kind:     by_value
      - .actual_access:  write_only
        .address_space:  global
        .offset:         56
        .size:           8
        .value_kind:     global_buffer
    .group_segment_fixed_size: 40
    .kernarg_segment_align: 8
    .kernarg_segment_size: 64
    .language:       OpenCL C
    .language_version:
      - 2
      - 0
    .max_flat_workgroup_size: 1024
    .name:           _Z3mhaPKfS0_S0_iiiiifiPf
    .private_segment_fixed_size: 0
    .sgpr_count:     28
    .sgpr_spill_count: 0
    .symbol:         _Z3mhaPKfS0_S0_iiiiifiPf.kd
    .uniform_work_group_size: 1
    .uses_dynamic_stack: false
    .vgpr_count:     23
    .vgpr_spill_count: 0
    .wavefront_size: 32
    .workgroup_processor_mode: 1
amdhsa.target:   amdgcn-amd-amdhsa--gfx1100
amdhsa.version:
  - 1
  - 2
...

	.end_amdgpu_metadata
